;; amdgpu-corpus repo=zjin-lcf/HeCBench kind=compiled arch=gfx906 opt=O3
	.amdgcn_target "amdgcn-amd-amdhsa--gfx906"
	.amdhsa_code_object_version 6
	.text
	.protected	_Z6kernelPKdPdi         ; -- Begin function _Z6kernelPKdPdi
	.globl	_Z6kernelPKdPdi
	.p2align	8
	.type	_Z6kernelPKdPdi,@function
_Z6kernelPKdPdi:                        ; @_Z6kernelPKdPdi
; %bb.0:
	s_add_u32 flat_scratch_lo, s12, s17
	s_addc_u32 flat_scratch_hi, s13, 0
	s_load_dword s12, s[8:9], 0x24
	s_load_dword s13, s[8:9], 0x10
	s_add_u32 s0, s0, s17
	s_addc_u32 s1, s1, 0
	s_mov_b32 s32, 0
	s_waitcnt lgkmcnt(0)
	s_and_b32 s12, s12, 0xffff
	s_mul_i32 s12, s14, s12
	v_add_u32_e32 v3, s12, v0
	v_cmp_gt_i32_e32 vcc, s13, v3
	s_and_saveexec_b64 s[12:13], vcc
	s_cbranch_execz .LBB0_2
; %bb.1:
	s_load_dwordx4 s[20:23], s[8:9], 0x0
	v_ashrrev_i32_e32 v4, 31, v3
	v_lshlrev_b64 v[5:6], 3, v[3:4]
	s_add_u32 s8, s8, 24
	v_lshlrev_b32_e32 v2, 20, v2
	s_waitcnt lgkmcnt(0)
	v_mov_b32_e32 v4, s21
	v_add_co_u32_e32 v3, vcc, s20, v5
	v_addc_co_u32_e32 v4, vcc, v4, v6, vcc
	global_load_dwordx2 v[3:4], v[3:4], off
	v_lshlrev_b32_e32 v1, 10, v1
	s_addc_u32 s9, s9, 0
	v_or3_b32 v31, v0, v1, v2
	v_mov_b32_e32 v0, s23
	v_add_co_u32_e32 v40, vcc, s22, v5
	s_getpc_b64 s[18:19]
	s_add_u32 s18, s18, _Z21Fresnel_Sine_Integrald@rel32@lo+4
	s_addc_u32 s19, s19, _Z21Fresnel_Sine_Integrald@rel32@hi+12
	v_addc_co_u32_e32 v41, vcc, v0, v6, vcc
	s_mov_b32 s12, s14
	s_mov_b32 s13, s15
	;; [unrolled: 1-line block ×3, first 2 shown]
	s_waitcnt vmcnt(0)
	v_mov_b32_e32 v0, v3
	v_mov_b32_e32 v1, v4
	s_swappc_b64 s[30:31], s[18:19]
	global_store_dwordx2 v[40:41], v[0:1], off
.LBB0_2:
	s_endpgm
	.section	.rodata,"a",@progbits
	.p2align	6, 0x0
	.amdhsa_kernel _Z6kernelPKdPdi
		.amdhsa_group_segment_fixed_size 0
		.amdhsa_private_segment_fixed_size 0
		.amdhsa_kernarg_size 280
		.amdhsa_user_sgpr_count 14
		.amdhsa_user_sgpr_private_segment_buffer 1
		.amdhsa_user_sgpr_dispatch_ptr 1
		.amdhsa_user_sgpr_queue_ptr 1
		.amdhsa_user_sgpr_kernarg_segment_ptr 1
		.amdhsa_user_sgpr_dispatch_id 1
		.amdhsa_user_sgpr_flat_scratch_init 1
		.amdhsa_user_sgpr_private_segment_size 0
		.amdhsa_uses_dynamic_stack 1
		.amdhsa_system_sgpr_private_segment_wavefront_offset 1
		.amdhsa_system_sgpr_workgroup_id_x 1
		.amdhsa_system_sgpr_workgroup_id_y 1
		.amdhsa_system_sgpr_workgroup_id_z 1
		.amdhsa_system_sgpr_workgroup_info 0
		.amdhsa_system_vgpr_workitem_id 2
		.amdhsa_next_free_vgpr max(totalnumvgprs(_Z6kernelPKdPdi.num_agpr, _Z6kernelPKdPdi.num_vgpr), 1, 0)
		.amdhsa_next_free_sgpr max(_Z6kernelPKdPdi.numbered_sgpr+6, 1, 0)-6
		.amdhsa_reserve_vcc 1
		.amdhsa_reserve_flat_scratch 1
		.amdhsa_float_round_mode_32 0
		.amdhsa_float_round_mode_16_64 0
		.amdhsa_float_denorm_mode_32 3
		.amdhsa_float_denorm_mode_16_64 3
		.amdhsa_dx10_clamp 1
		.amdhsa_ieee_mode 1
		.amdhsa_fp16_overflow 0
		.amdhsa_exception_fp_ieee_invalid_op 0
		.amdhsa_exception_fp_denorm_src 0
		.amdhsa_exception_fp_ieee_div_zero 0
		.amdhsa_exception_fp_ieee_overflow 0
		.amdhsa_exception_fp_ieee_underflow 0
		.amdhsa_exception_fp_ieee_inexact 0
		.amdhsa_exception_int_div_zero 0
	.end_amdhsa_kernel
	.text
.Lfunc_end0:
	.size	_Z6kernelPKdPdi, .Lfunc_end0-_Z6kernelPKdPdi
                                        ; -- End function
	.set _Z6kernelPKdPdi.num_vgpr, max(42, amdgpu.max_num_vgpr)
	.set _Z6kernelPKdPdi.num_agpr, max(0, amdgpu.max_num_agpr)
	.set _Z6kernelPKdPdi.numbered_sgpr, max(33, amdgpu.max_num_sgpr)
	.set _Z6kernelPKdPdi.num_named_barrier, max(0, amdgpu.max_num_named_barrier)
	.set _Z6kernelPKdPdi.private_seg_size, 0
	.set _Z6kernelPKdPdi.uses_vcc, 1
	.set _Z6kernelPKdPdi.uses_flat_scratch, 1
	.set _Z6kernelPKdPdi.has_dyn_sized_stack, 1
	.set _Z6kernelPKdPdi.has_recursion, 1
	.set _Z6kernelPKdPdi.has_indirect_call, 1
	.section	.AMDGPU.csdata,"",@progbits
; Kernel info:
; codeLenInByte = 208
; TotalNumSgprs: _Z6kernelPKdPdi.numbered_sgpr+6
; NumVgprs: _Z6kernelPKdPdi.num_vgpr
; ScratchSize: 0
; MemoryBound: 0
; FloatMode: 240
; IeeeMode: 1
; LDSByteSize: 0 bytes/workgroup (compile time only)
; SGPRBlocks: (alignto(max(max(_Z6kernelPKdPdi.numbered_sgpr+extrasgprs(_Z6kernelPKdPdi.uses_vcc, _Z6kernelPKdPdi.uses_flat_scratch, 1), 1, 0), 1), 8)/8)-1
; VGPRBlocks: (alignto(max(max(totalnumvgprs(_Z6kernelPKdPdi.num_agpr, _Z6kernelPKdPdi.num_vgpr), 1, 0), 1), 4)/4)-1
; NumSGPRsForWavesPerEU: max(_Z6kernelPKdPdi.numbered_sgpr+6, 1, 0)
; NumVGPRsForWavesPerEU: max(totalnumvgprs(_Z6kernelPKdPdi.num_agpr, _Z6kernelPKdPdi.num_vgpr), 1, 0)
; Occupancy: occupancy(10, 4, 256, 8, 10, max(_Z6kernelPKdPdi.numbered_sgpr+extrasgprs(_Z6kernelPKdPdi.uses_vcc, _Z6kernelPKdPdi.uses_flat_scratch, 1), 1, 0), max(totalnumvgprs(_Z6kernelPKdPdi.num_agpr, _Z6kernelPKdPdi.num_vgpr), 1, 0))
; WaveLimiterHint : 0
; COMPUTE_PGM_RSRC2:SCRATCH_EN: 1
; COMPUTE_PGM_RSRC2:USER_SGPR: 14
; COMPUTE_PGM_RSRC2:TRAP_HANDLER: 0
; COMPUTE_PGM_RSRC2:TGID_X_EN: 1
; COMPUTE_PGM_RSRC2:TGID_Y_EN: 1
; COMPUTE_PGM_RSRC2:TGID_Z_EN: 1
; COMPUTE_PGM_RSRC2:TIDIG_COMP_CNT: 2
	.section	.AMDGPU.gpr_maximums,"",@progbits
	.set amdgpu.max_num_vgpr, 0
	.set amdgpu.max_num_agpr, 0
	.set amdgpu.max_num_sgpr, 0
	.section	.AMDGPU.csdata,"",@progbits
	.type	__hip_cuid_8a751e7c806b3e0c,@object ; @__hip_cuid_8a751e7c806b3e0c
	.section	.bss,"aw",@nobits
	.globl	__hip_cuid_8a751e7c806b3e0c
__hip_cuid_8a751e7c806b3e0c:
	.byte	0                               ; 0x0
	.size	__hip_cuid_8a751e7c806b3e0c, 1

	.hidden	_Z21Fresnel_Sine_Integrald
	.ident	"AMD clang version 22.0.0git (https://github.com/RadeonOpenCompute/llvm-project roc-7.2.4 26084 f58b06dce1f9c15707c5f808fd002e18c2accf7e)"
	.section	".note.GNU-stack","",@progbits
	.addrsig
	.addrsig_sym __hip_cuid_8a751e7c806b3e0c
	.amdgpu_metadata
---
amdhsa.kernels:
  - .args:
      - .actual_access:  read_only
        .address_space:  global
        .offset:         0
        .size:           8
        .value_kind:     global_buffer
      - .actual_access:  write_only
        .address_space:  global
        .offset:         8
        .size:           8
        .value_kind:     global_buffer
      - .offset:         16
        .size:           4
        .value_kind:     by_value
      - .offset:         24
        .size:           4
        .value_kind:     hidden_block_count_x
      - .offset:         28
        .size:           4
        .value_kind:     hidden_block_count_y
      - .offset:         32
        .size:           4
        .value_kind:     hidden_block_count_z
      - .offset:         36
        .size:           2
        .value_kind:     hidden_group_size_x
      - .offset:         38
        .size:           2
        .value_kind:     hidden_group_size_y
      - .offset:         40
        .size:           2
        .value_kind:     hidden_group_size_z
      - .offset:         42
        .size:           2
        .value_kind:     hidden_remainder_x
      - .offset:         44
        .size:           2
        .value_kind:     hidden_remainder_y
      - .offset:         46
        .size:           2
        .value_kind:     hidden_remainder_z
      - .offset:         64
        .size:           8
        .value_kind:     hidden_global_offset_x
      - .offset:         72
        .size:           8
        .value_kind:     hidden_global_offset_y
      - .offset:         80
        .size:           8
        .value_kind:     hidden_global_offset_z
      - .offset:         88
        .size:           2
        .value_kind:     hidden_grid_dims
      - .offset:         104
        .size:           8
        .value_kind:     hidden_hostcall_buffer
      - .offset:         112
        .size:           8
        .value_kind:     hidden_multigrid_sync_arg
      - .offset:         120
        .size:           8
        .value_kind:     hidden_heap_v1
      - .offset:         128
        .size:           8
        .value_kind:     hidden_default_queue
      - .offset:         136
        .size:           8
        .value_kind:     hidden_completion_action
      - .offset:         224
        .size:           8
        .value_kind:     hidden_queue_ptr
    .group_segment_fixed_size: 0
    .kernarg_segment_align: 8
    .kernarg_segment_size: 280
    .language:       OpenCL C
    .language_version:
      - 2
      - 0
    .max_flat_workgroup_size: 1024
    .name:           _Z6kernelPKdPdi
    .private_segment_fixed_size: 0
    .sgpr_count:     39
    .sgpr_spill_count: 0
    .symbol:         _Z6kernelPKdPdi.kd
    .uniform_work_group_size: 1
    .uses_dynamic_stack: true
    .vgpr_count:     42
    .vgpr_spill_count: 0
    .wavefront_size: 64
amdhsa.target:   amdgcn-amd-amdhsa--gfx906
amdhsa.version:
  - 1
  - 2
...

	.end_amdgpu_metadata
